;; amdgpu-corpus repo=ROCm/rocFFT kind=compiled arch=gfx906 opt=O3
	.text
	.amdgcn_target "amdgcn-amd-amdhsa--gfx906"
	.amdhsa_code_object_version 6
	.protected	fft_rtc_fwd_len108_factors_6_6_3_wgs_576_tpt_36_half_ip_CI_sbcc_twdbase8_3step_dirReg_intrinsicReadWrite ; -- Begin function fft_rtc_fwd_len108_factors_6_6_3_wgs_576_tpt_36_half_ip_CI_sbcc_twdbase8_3step_dirReg_intrinsicReadWrite
	.globl	fft_rtc_fwd_len108_factors_6_6_3_wgs_576_tpt_36_half_ip_CI_sbcc_twdbase8_3step_dirReg_intrinsicReadWrite
	.p2align	8
	.type	fft_rtc_fwd_len108_factors_6_6_3_wgs_576_tpt_36_half_ip_CI_sbcc_twdbase8_3step_dirReg_intrinsicReadWrite,@function
fft_rtc_fwd_len108_factors_6_6_3_wgs_576_tpt_36_half_ip_CI_sbcc_twdbase8_3step_dirReg_intrinsicReadWrite: ; @fft_rtc_fwd_len108_factors_6_6_3_wgs_576_tpt_36_half_ip_CI_sbcc_twdbase8_3step_dirReg_intrinsicReadWrite
; %bb.0:
	s_load_dwordx4 s[0:3], s[4:5], 0x18
	s_mov_b32 s7, 0
	s_mov_b64 s[24:25], 0
	s_waitcnt lgkmcnt(0)
	s_load_dwordx2 s[10:11], s[0:1], 0x8
	s_waitcnt lgkmcnt(0)
	s_add_u32 s8, s10, -1
	s_addc_u32 s9, s11, -1
	s_lshr_b64 s[8:9], s[8:9], 4
	s_add_u32 s22, s8, 1
	s_addc_u32 s23, s9, 0
	v_mov_b32_e32 v1, s22
	v_mov_b32_e32 v2, s23
	v_cmp_lt_u64_e32 vcc, s[6:7], v[1:2]
	s_cbranch_vccnz .LBB0_2
; %bb.1:
	v_cvt_f32_u32_e32 v1, s22
	s_sub_i32 s8, 0, s22
	s_mov_b32 s25, s7
	v_rcp_iflag_f32_e32 v1, v1
	v_mul_f32_e32 v1, 0x4f7ffffe, v1
	v_cvt_u32_f32_e32 v1, v1
	v_readfirstlane_b32 s9, v1
	s_mul_i32 s8, s8, s9
	s_mul_hi_u32 s8, s9, s8
	s_add_i32 s9, s9, s8
	s_mul_hi_u32 s8, s6, s9
	s_mul_i32 s12, s8, s22
	s_sub_i32 s12, s6, s12
	s_add_i32 s9, s8, 1
	s_sub_i32 s13, s12, s22
	s_cmp_ge_u32 s12, s22
	s_cselect_b32 s8, s9, s8
	s_cselect_b32 s12, s13, s12
	s_add_i32 s9, s8, 1
	s_cmp_ge_u32 s12, s22
	s_cselect_b32 s24, s9, s8
.LBB0_2:
	s_load_dwordx2 s[8:9], s[4:5], 0x58
	s_load_dwordx4 s[12:15], s[2:3], 0x0
	s_waitcnt lgkmcnt(0)
	s_mul_i32 s13, s24, s23
	s_mul_hi_u32 s16, s24, s22
	s_add_i32 s16, s16, s13
	s_mul_i32 s13, s24, s22
	s_sub_u32 s26, s6, s13
	s_subb_u32 s27, 0, s16
	v_mov_b32_e32 v1, s26
	v_alignbit_b32 v1, s27, v1, 28
	s_load_dwordx2 s[20:21], s[4:5], 0x0
	s_load_dwordx4 s[16:19], s[4:5], 0x8
	v_mul_lo_u32 v1, s14, v1
	s_lshl_b64 s[4:5], s[26:27], 4
	s_mul_hi_u32 s13, s14, s4
	v_add_u32_e32 v1, s13, v1
	s_mul_i32 s13, s15, s4
	s_waitcnt lgkmcnt(0)
	v_cmp_lt_u64_e64 s[26:27], s[18:19], 3
	v_add_u32_e32 v3, s13, v1
	s_mul_i32 s13, s14, s4
	v_mov_b32_e32 v5, s13
	s_and_b64 vcc, exec, s[26:27]
	s_cbranch_vccnz .LBB0_9
; %bb.3:
	s_add_u32 s26, s2, 16
	s_addc_u32 s27, s3, 0
	s_add_u32 s28, s0, 16
	v_mov_b32_e32 v1, s18
	s_addc_u32 s29, s1, 0
	s_mov_b64 s[30:31], 2
	s_mov_b32 s34, 0
	v_mov_b32_e32 v2, s19
	s_branch .LBB0_5
.LBB0_4:                                ;   in Loop: Header=BB0_5 Depth=1
	s_mul_i32 s13, s36, s23
	s_mul_hi_u32 s15, s36, s22
	s_add_i32 s13, s15, s13
	s_mul_i32 s15, s37, s22
	s_add_i32 s23, s13, s15
	s_mul_i32 s13, s0, s37
	s_mul_hi_u32 s15, s0, s36
	s_load_dwordx2 s[38:39], s[26:27], 0x0
	s_add_i32 s13, s15, s13
	s_mul_i32 s15, s1, s36
	s_add_i32 s13, s13, s15
	s_mul_i32 s15, s0, s36
	s_sub_u32 s15, s24, s15
	s_subb_u32 s13, s25, s13
	s_waitcnt lgkmcnt(0)
	s_mul_i32 s13, s38, s13
	s_mul_hi_u32 s24, s38, s15
	s_add_i32 s13, s24, s13
	s_mul_i32 s24, s39, s15
	s_add_i32 s13, s13, s24
	s_mul_i32 s15, s38, s15
	s_add_u32 s30, s30, 1
	v_mov_b32_e32 v4, s13
	v_add_co_u32_e32 v5, vcc, s15, v5
	s_addc_u32 s31, s31, 0
	v_addc_co_u32_e32 v3, vcc, v4, v3, vcc
	s_add_u32 s26, s26, 8
	s_addc_u32 s27, s27, 0
	v_cmp_ge_u64_e32 vcc, s[30:31], v[1:2]
	s_add_u32 s28, s28, 8
	s_mul_i32 s22, s36, s22
	s_addc_u32 s29, s29, 0
	s_mov_b64 s[24:25], s[0:1]
	s_cbranch_vccnz .LBB0_10
.LBB0_5:                                ; =>This Inner Loop Header: Depth=1
	s_load_dwordx2 s[36:37], s[28:29], 0x0
	s_waitcnt lgkmcnt(0)
	s_or_b64 s[0:1], s[24:25], s[36:37]
	s_mov_b32 s35, s1
	s_cmp_lg_u64 s[34:35], 0
	s_cbranch_scc0 .LBB0_7
; %bb.6:                                ;   in Loop: Header=BB0_5 Depth=1
	v_cvt_f32_u32_e32 v4, s36
	v_cvt_f32_u32_e32 v6, s37
	s_sub_u32 s0, 0, s36
	s_subb_u32 s1, 0, s37
	v_mac_f32_e32 v4, 0x4f800000, v6
	v_rcp_f32_e32 v4, v4
	v_mul_f32_e32 v4, 0x5f7ffffc, v4
	v_mul_f32_e32 v6, 0x2f800000, v4
	v_trunc_f32_e32 v6, v6
	v_mac_f32_e32 v4, 0xcf800000, v6
	v_cvt_u32_f32_e32 v6, v6
	v_cvt_u32_f32_e32 v4, v4
	v_readfirstlane_b32 s13, v6
	v_readfirstlane_b32 s15, v4
	s_mul_i32 s33, s0, s13
	s_mul_hi_u32 s38, s0, s15
	s_mul_i32 s35, s1, s15
	s_add_i32 s33, s38, s33
	s_mul_i32 s39, s0, s15
	s_add_i32 s33, s33, s35
	s_mul_hi_u32 s35, s15, s33
	s_mul_i32 s38, s15, s33
	s_mul_hi_u32 s15, s15, s39
	s_add_u32 s15, s15, s38
	s_addc_u32 s35, 0, s35
	s_mul_hi_u32 s40, s13, s39
	s_mul_i32 s39, s13, s39
	s_add_u32 s15, s15, s39
	s_mul_hi_u32 s38, s13, s33
	s_addc_u32 s15, s35, s40
	s_addc_u32 s35, s38, 0
	s_mul_i32 s33, s13, s33
	s_add_u32 s15, s15, s33
	s_addc_u32 s33, 0, s35
	v_add_co_u32_e32 v4, vcc, s15, v4
	s_cmp_lg_u64 vcc, 0
	s_addc_u32 s13, s13, s33
	v_readfirstlane_b32 s33, v4
	s_mul_i32 s15, s0, s13
	s_mul_hi_u32 s35, s0, s33
	s_add_i32 s15, s35, s15
	s_mul_i32 s1, s1, s33
	s_add_i32 s15, s15, s1
	s_mul_i32 s0, s0, s33
	s_mul_hi_u32 s35, s13, s0
	s_mul_i32 s38, s13, s0
	s_mul_i32 s40, s33, s15
	s_mul_hi_u32 s0, s33, s0
	s_mul_hi_u32 s39, s33, s15
	s_add_u32 s0, s0, s40
	s_addc_u32 s33, 0, s39
	s_add_u32 s0, s0, s38
	s_mul_hi_u32 s1, s13, s15
	s_addc_u32 s0, s33, s35
	s_addc_u32 s1, s1, 0
	s_mul_i32 s15, s13, s15
	s_add_u32 s0, s0, s15
	s_addc_u32 s1, 0, s1
	v_add_co_u32_e32 v4, vcc, s0, v4
	s_cmp_lg_u64 vcc, 0
	s_addc_u32 s0, s13, s1
	v_readfirstlane_b32 s15, v4
	s_mul_i32 s13, s24, s0
	s_mul_hi_u32 s33, s24, s15
	s_mul_hi_u32 s1, s24, s0
	s_add_u32 s13, s33, s13
	s_addc_u32 s1, 0, s1
	s_mul_hi_u32 s35, s25, s15
	s_mul_i32 s15, s25, s15
	s_add_u32 s13, s13, s15
	s_mul_hi_u32 s33, s25, s0
	s_addc_u32 s1, s1, s35
	s_addc_u32 s13, s33, 0
	s_mul_i32 s0, s25, s0
	s_add_u32 s15, s1, s0
	s_addc_u32 s13, 0, s13
	s_mul_i32 s0, s36, s13
	s_mul_hi_u32 s1, s36, s15
	s_add_i32 s0, s1, s0
	s_mul_i32 s1, s37, s15
	s_add_i32 s33, s0, s1
	s_mul_i32 s1, s36, s15
	v_mov_b32_e32 v4, s1
	s_sub_i32 s0, s25, s33
	v_sub_co_u32_e32 v4, vcc, s24, v4
	s_cmp_lg_u64 vcc, 0
	s_subb_u32 s35, s0, s37
	v_subrev_co_u32_e64 v6, s[0:1], s36, v4
	s_cmp_lg_u64 s[0:1], 0
	s_subb_u32 s0, s35, 0
	s_cmp_ge_u32 s0, s37
	v_readfirstlane_b32 s35, v6
	s_cselect_b32 s1, -1, 0
	s_cmp_ge_u32 s35, s36
	s_cselect_b32 s35, -1, 0
	s_cmp_eq_u32 s0, s37
	s_cselect_b32 s0, s35, s1
	s_add_u32 s1, s15, 1
	s_addc_u32 s35, s13, 0
	s_add_u32 s38, s15, 2
	s_addc_u32 s39, s13, 0
	s_cmp_lg_u32 s0, 0
	s_cselect_b32 s0, s38, s1
	s_cselect_b32 s1, s39, s35
	s_cmp_lg_u64 vcc, 0
	s_subb_u32 s33, s25, s33
	s_cmp_ge_u32 s33, s37
	v_readfirstlane_b32 s38, v4
	s_cselect_b32 s35, -1, 0
	s_cmp_ge_u32 s38, s36
	s_cselect_b32 s38, -1, 0
	s_cmp_eq_u32 s33, s37
	s_cselect_b32 s33, s38, s35
	s_cmp_lg_u32 s33, 0
	s_cselect_b32 s1, s1, s13
	s_cselect_b32 s0, s0, s15
	s_cbranch_execnz .LBB0_4
	s_branch .LBB0_8
.LBB0_7:                                ;   in Loop: Header=BB0_5 Depth=1
                                        ; implicit-def: $sgpr0_sgpr1
.LBB0_8:                                ;   in Loop: Header=BB0_5 Depth=1
	v_cvt_f32_u32_e32 v4, s36
	s_sub_i32 s0, 0, s36
	v_rcp_iflag_f32_e32 v4, v4
	v_mul_f32_e32 v4, 0x4f7ffffe, v4
	v_cvt_u32_f32_e32 v4, v4
	v_readfirstlane_b32 s1, v4
	s_mul_i32 s0, s0, s1
	s_mul_hi_u32 s0, s1, s0
	s_add_i32 s1, s1, s0
	s_mul_hi_u32 s0, s24, s1
	s_mul_i32 s13, s0, s36
	s_sub_i32 s13, s24, s13
	s_add_i32 s1, s0, 1
	s_sub_i32 s15, s13, s36
	s_cmp_ge_u32 s13, s36
	s_cselect_b32 s0, s1, s0
	s_cselect_b32 s13, s15, s13
	s_add_i32 s1, s0, 1
	s_cmp_ge_u32 s13, s36
	s_cselect_b32 s0, s1, s0
	s_mov_b32 s1, s34
	s_branch .LBB0_4
.LBB0_9:
	v_mov_b32_e32 v1, s24
	v_mov_b32_e32 v2, s25
	s_branch .LBB0_12
.LBB0_10:
	v_mov_b32_e32 v1, s22
	v_mov_b32_e32 v2, s23
	v_cmp_lt_u64_e32 vcc, s[6:7], v[1:2]
	v_mov_b32_e32 v1, 0
	v_mov_b32_e32 v2, 0
	s_cbranch_vccnz .LBB0_12
; %bb.11:
	v_cvt_f32_u32_e32 v1, s22
	s_sub_i32 s0, 0, s22
	v_rcp_iflag_f32_e32 v1, v1
	v_mul_f32_e32 v1, 0x4f7ffffe, v1
	v_cvt_u32_f32_e32 v1, v1
	v_mul_lo_u32 v2, s0, v1
	v_mul_hi_u32 v2, v1, v2
	v_add_u32_e32 v1, v1, v2
	v_mul_hi_u32 v1, s6, v1
	v_mul_lo_u32 v2, v1, s22
	v_add_u32_e32 v3, 1, v1
	v_sub_u32_e32 v2, s6, v2
	v_subrev_u32_e32 v4, s22, v2
	v_cmp_le_u32_e32 vcc, s22, v2
	v_cndmask_b32_e32 v2, v2, v4, vcc
	v_cndmask_b32_e32 v1, v1, v3, vcc
	v_add_u32_e32 v3, 1, v1
	v_cmp_le_u32_e32 vcc, s22, v2
	v_cndmask_b32_e32 v1, v1, v3, vcc
.LBB0_12:
	s_lshl_b64 s[0:1], s[18:19], 3
	s_add_u32 s0, s2, s0
	s_addc_u32 s1, s3, s1
	s_load_dword s0, s[0:1], 0x0
	v_mov_b32_e32 v6, s10
	v_and_b32_e32 v15, 15, v0
	v_mov_b32_e32 v7, s11
	v_mov_b32_e32 v4, s5
	s_waitcnt lgkmcnt(0)
	v_mul_lo_u32 v1, s0, v1
	s_add_u32 s0, s4, 16
	s_addc_u32 s1, s5, 0
	v_cmp_le_u64_e32 vcc, s[0:1], v[6:7]
	v_add_u32_e32 v6, v1, v5
	v_mad_u64_u32 v[1:2], s[0:1], s14, v15, 0
	s_movk_i32 s0, 0x11f
	v_or_b32_e32 v3, s4, v15
	v_cmp_lt_u32_e64 s[4:5], s0, v0
	s_movk_i32 s0, 0x120
	v_lshrrev_b32_e32 v5, 4, v0
	v_cmp_gt_u32_e64 s[2:3], s0, v0
	v_cmp_gt_u64_e64 s[0:1], s[10:11], v[3:4]
	v_mul_lo_u32 v2, s12, v5
	v_cndmask_b32_e64 v7, 0, 1, s[2:3]
	v_cndmask_b32_e64 v4, 0, 1, s[0:1]
	s_or_b64 s[4:5], s[4:5], vcc
	v_cndmask_b32_e64 v4, v4, v7, s[4:5]
	v_and_b32_e32 v4, 1, v4
	v_add_lshl_u32 v7, v1, v2, 2
	v_cmp_eq_u32_e64 s[4:5], 1, v4
	v_lshlrev_b32_e32 v2, 2, v6
	v_cndmask_b32_e64 v4, -1, v7, s[4:5]
	v_add_u32_e32 v6, 18, v5
	v_add_u32_e32 v7, 36, v5
	;; [unrolled: 1-line block ×5, first 2 shown]
	v_mul_lo_u32 v6, s12, v6
	v_mul_lo_u32 v7, s12, v7
	;; [unrolled: 1-line block ×5, first 2 shown]
	s_mov_b32 s11, 0x20000
	s_mov_b32 s10, -2
	v_readfirstlane_b32 s6, v2
	v_add_lshl_u32 v6, v1, v6, 2
	v_add_lshl_u32 v7, v1, v7, 2
	;; [unrolled: 1-line block ×5, first 2 shown]
	v_cndmask_b32_e64 v6, -1, v6, s[4:5]
	v_cndmask_b32_e64 v7, -1, v7, s[4:5]
	;; [unrolled: 1-line block ×4, first 2 shown]
	buffer_load_dword v11, v4, s[8:11], s6 offen
	buffer_load_dword v12, v6, s[8:11], s6 offen
	;; [unrolled: 1-line block ×5, first 2 shown]
	v_cndmask_b32_e64 v4, -1, v10, s[4:5]
	buffer_load_dword v4, v4, s[8:11], s6 offen
	s_movk_i32 s4, 0x3aee
	s_mov_b32 s5, 0xffff
	s_mov_b32 s6, 0xbaee3aee
	s_waitcnt vmcnt(3)
	v_pk_add_f16 v6, v11, v13
	s_waitcnt vmcnt(2)
	v_pk_add_f16 v7, v12, v14
	;; [unrolled: 2-line block ×3, first 2 shown]
	v_pk_add_f16 v9, v13, v16 neg_lo:[0,1] neg_hi:[0,1]
	s_waitcnt vmcnt(0)
	v_pk_add_f16 v10, v14, v4
	v_pk_add_f16 v13, v14, v4 neg_lo:[0,1] neg_hi:[0,1]
	v_pk_fma_f16 v8, v8, 0.5, v11 op_sel_hi:[1,0,1] neg_lo:[1,0,0] neg_hi:[1,0,0]
	v_pk_mul_f16 v9, v9, s4 op_sel_hi:[1,0]
	v_pk_fma_f16 v10, v10, 0.5, v12 op_sel_hi:[1,0,1] neg_lo:[1,0,0] neg_hi:[1,0,0]
	v_pk_add_f16 v6, v6, v16
	v_pk_add_f16 v4, v7, v4
	v_pk_add_f16 v11, v8, v9 op_sel:[0,1] op_sel_hi:[1,0]
	v_pk_add_f16 v14, v8, v9 op_sel:[0,1] op_sel_hi:[1,0] neg_lo:[0,1] neg_hi:[0,1]
	v_pk_fma_f16 v8, v13, s4, v10 op_sel:[0,0,1] op_sel_hi:[1,0,0]
	v_pk_fma_f16 v10, v13, s4, v10 op_sel:[0,0,1] op_sel_hi:[1,0,0] neg_lo:[1,0,0] neg_hi:[1,0,0]
	v_pk_add_f16 v7, v6, v4
	v_pk_add_f16 v9, v6, v4 neg_lo:[0,1] neg_hi:[0,1]
	v_lshrrev_b32_e32 v6, 16, v8
	v_bfi_b32 v12, s5, v8, v10
	v_mul_f16_e32 v8, 0x3aee, v10
	v_fma_f16 v13, v6, 0.5, v8
	v_pk_mul_f16 v16, v12, 0.5 op_sel_hi:[1,0]
	v_mul_f16_e32 v6, 0xbaee, v6
	v_bfi_b32 v4, s5, v14, v11
	v_pk_fma_f16 v16, v12, s6, v16 op_sel:[0,0,1] op_sel_hi:[1,1,0] neg_lo:[0,0,1] neg_hi:[0,0,1]
	v_fma_f16 v6, v10, 0.5, v6
	v_add_f16_e32 v8, v11, v13
	v_sub_f16_e32 v11, v11, v13
	v_add_f16_sdwa v13, v14, v6 dst_sel:DWORD dst_unused:UNUSED_PAD src0_sel:WORD_1 src1_sel:DWORD
	v_pk_add_f16 v12, v4, v16
	v_sub_f16_sdwa v14, v14, v6 dst_sel:DWORD dst_unused:UNUSED_PAD src0_sel:WORD_1 src1_sel:DWORD
	v_pk_add_f16 v10, v4, v16 neg_lo:[0,1] neg_hi:[0,1]
	v_lshlrev_b32_e32 v4, 2, v15
	s_and_saveexec_b64 s[4:5], s[2:3]
	s_cbranch_execz .LBB0_14
; %bb.13:
	v_mul_u32_u24_e32 v6, 0x60, v5
	v_lshlrev_b32_e32 v6, 2, v6
	s_mov_b32 s6, 0x5040100
	v_add3_u32 v6, 0, v6, v4
	v_perm_b32 v15, v13, v8, s6
	ds_write2_b32 v6, v7, v15 offset1:16
	ds_write2_b32 v6, v12, v9 offset0:32 offset1:48
	v_perm_b32 v15, v14, v11, s6
	ds_write2_b32 v6, v15, v10 offset0:64 offset1:80
.LBB0_14:
	s_or_b64 exec, exec, s[4:5]
	v_lshrrev_b32_e32 v15, 16, v12
	v_lshrrev_b32_e32 v16, 16, v9
	;; [unrolled: 1-line block ×3, first 2 shown]
	v_lshlrev_b32_e32 v6, 6, v5
	s_waitcnt lgkmcnt(0)
	s_barrier
	s_and_saveexec_b64 s[4:5], s[2:3]
	s_cbranch_execz .LBB0_16
; %bb.15:
	v_add3_u32 v10, 0, v6, v4
	ds_read_b32 v7, v10
	ds_read_b32 v8, v10 offset:1152
	ds_read_b32 v12, v10 offset:2304
	;; [unrolled: 1-line block ×5, first 2 shown]
	s_waitcnt lgkmcnt(4)
	v_lshrrev_b32_e32 v13, 16, v8
	s_waitcnt lgkmcnt(3)
	v_lshrrev_b32_e32 v15, 16, v12
	;; [unrolled: 2-line block ×5, first 2 shown]
.LBB0_16:
	s_or_b64 exec, exec, s[4:5]
	s_barrier
	s_and_saveexec_b64 s[4:5], s[2:3]
	s_cbranch_execz .LBB0_18
; %bb.17:
	v_mul_lo_u16_e32 v18, 43, v5
	v_lshrrev_b16_e32 v22, 8, v18
	v_mul_lo_u16_e32 v18, 6, v22
	v_sub_u16_e32 v23, v5, v18
	v_mul_lo_u16_e32 v18, 5, v23
	v_mov_b32_e32 v19, 2
	v_lshlrev_b32_sdwa v24, v19, v18 dst_sel:DWORD dst_unused:UNUSED_PAD src0_sel:DWORD src1_sel:BYTE_0
	global_load_dwordx4 v[18:21], v24, s[20:21]
	global_load_dword v25, v24, s[20:21] offset:16
	s_mov_b32 s2, 0xffff
	s_movk_i32 s3, 0x3aee
	v_mov_b32_e32 v24, 6
	v_mad_legacy_u16 v22, v22, 36, v23
	s_mov_b32 s6, 0xbaee3aee
	v_lshlrev_b32_sdwa v22, v24, v22 dst_sel:DWORD dst_unused:UNUSED_PAD src0_sel:DWORD src1_sel:BYTE_0
	v_add3_u32 v22, 0, v22, v4
	v_add_u32_e32 v23, 0x200, v22
	v_add_u32_e32 v24, 0x400, v22
	s_waitcnt vmcnt(1)
	v_pk_mul_f16 v15, v15, v19 op_sel_hi:[0,1]
	v_pk_mul_f16 v14, v14, v21 op_sel_hi:[0,1]
	;; [unrolled: 1-line block ×4, first 2 shown]
	s_waitcnt vmcnt(0)
	v_pk_mul_f16 v17, v17, v25 op_sel_hi:[0,1]
	v_pk_fma_f16 v26, v12, v19, v15 op_sel:[0,0,1] op_sel_hi:[1,1,0] neg_lo:[0,0,1] neg_hi:[0,0,1]
	v_pk_fma_f16 v12, v12, v19, v15 op_sel:[0,0,1] op_sel_hi:[0,1,0]
	v_pk_fma_f16 v15, v11, v21, v14 op_sel:[0,0,1] op_sel_hi:[1,1,0] neg_lo:[0,0,1] neg_hi:[0,0,1]
	v_pk_fma_f16 v11, v11, v21, v14 op_sel:[0,0,1] op_sel_hi:[0,1,0]
	;; [unrolled: 2-line block ×5, first 2 shown]
	v_bfi_b32 v9, s2, v14, v9
	v_bfi_b32 v10, s2, v16, v10
	;; [unrolled: 1-line block ×5, first 2 shown]
	v_pk_add_f16 v14, v8, v9
	v_pk_add_f16 v15, v9, v10 neg_lo:[0,1] neg_hi:[0,1]
	v_pk_add_f16 v9, v9, v10
	v_pk_add_f16 v13, v7, v12
	;; [unrolled: 1-line block ×3, first 2 shown]
	v_pk_add_f16 v12, v12, v11 neg_lo:[0,1] neg_hi:[0,1]
	v_pk_fma_f16 v8, v9, 0.5, v8 op_sel_hi:[1,0,1] neg_lo:[1,0,0] neg_hi:[1,0,0]
	v_pk_add_f16 v11, v13, v11
	v_pk_add_f16 v10, v14, v10
	v_pk_fma_f16 v7, v16, 0.5, v7 op_sel_hi:[1,0,1] neg_lo:[1,0,0] neg_hi:[1,0,0]
	v_pk_mul_f16 v9, v12, s3 op_sel_hi:[1,0]
	v_pk_fma_f16 v13, v15, s3, v8 op_sel:[0,0,1] op_sel_hi:[1,0,0]
	v_pk_fma_f16 v8, v15, s3, v8 op_sel:[0,0,1] op_sel_hi:[1,0,0] neg_lo:[1,0,0] neg_hi:[1,0,0]
	v_pk_add_f16 v12, v11, v10
	v_pk_add_f16 v14, v7, v9 op_sel:[0,1] op_sel_hi:[1,0] neg_lo:[0,1] neg_hi:[0,1]
	v_pk_add_f16 v7, v7, v9 op_sel:[0,1] op_sel_hi:[1,0]
	v_pk_add_f16 v9, v11, v10 neg_lo:[0,1] neg_hi:[0,1]
	v_bfi_b32 v10, s2, v13, v8
	v_lshrrev_b32_e32 v13, 16, v13
	v_mul_f16_e32 v15, 0x3aee, v8
	v_mul_f16_e32 v17, 0xbaee, v13
	v_pk_mul_f16 v16, v10, 0.5 op_sel_hi:[1,0]
	v_fma_f16 v13, v13, 0.5, v15
	v_fma_f16 v8, v8, 0.5, v17
	v_bfi_b32 v11, s2, v14, v7
	v_pk_fma_f16 v10, v10, s6, v16 op_sel:[0,0,1] op_sel_hi:[1,1,0] neg_lo:[0,0,1] neg_hi:[0,0,1]
	v_sub_f16_e32 v15, v7, v13
	v_add_f16_e32 v7, v7, v13
	v_sub_f16_sdwa v13, v14, v8 dst_sel:DWORD dst_unused:UNUSED_PAD src0_sel:WORD_1 src1_sel:DWORD
	v_add_f16_sdwa v8, v14, v8 dst_sel:DWORD dst_unused:UNUSED_PAD src0_sel:WORD_1 src1_sel:DWORD
	v_pk_add_f16 v14, v11, v10
	v_pack_b32_f16 v7, v7, v8
	v_pk_add_f16 v10, v11, v10 neg_lo:[0,1] neg_hi:[0,1]
	ds_write2_b32 v23, v14, v9 offset0:64 offset1:160
	v_pack_b32_f16 v8, v15, v13
	ds_write2_b32 v22, v12, v7 offset1:96
	ds_write2_b32 v24, v8, v10 offset0:128 offset1:224
.LBB0_18:
	s_or_b64 exec, exec, s[4:5]
	s_movk_i32 s2, 0x240
	v_subrev_u32_e32 v7, 36, v5
	v_cmp_gt_u32_e64 s[2:3], s2, v0
	v_cndmask_b32_e64 v5, v7, v5, s[2:3]
	v_lshlrev_b32_e32 v7, 1, v5
	v_mov_b32_e32 v8, 0
	v_lshlrev_b64 v[7:8], 2, v[7:8]
	v_mov_b32_e32 v9, s21
	v_add_co_u32_e64 v7, s[2:3], s20, v7
	v_addc_co_u32_e64 v8, s[2:3], v9, v8, s[2:3]
	v_mul_lo_u32 v9, v3, v5
	v_add_u32_e32 v13, 36, v5
	s_waitcnt lgkmcnt(0)
	s_barrier
	global_load_dwordx2 v[7:8], v[7:8], off offset:120
	v_mov_b32_e32 v10, 2
	v_mul_lo_u32 v13, v3, v13
	v_lshlrev_b32_sdwa v11, v10, v9 dst_sel:DWORD dst_unused:UNUSED_PAD src0_sel:DWORD src1_sel:BYTE_0
	v_lshlrev_b32_sdwa v12, v10, v9 dst_sel:DWORD dst_unused:UNUSED_PAD src0_sel:DWORD src1_sel:BYTE_1
	global_load_dword v11, v11, s[16:17]
	v_lshlrev_b32_sdwa v14, v10, v13 dst_sel:DWORD dst_unused:UNUSED_PAD src0_sel:DWORD src1_sel:BYTE_0
	global_load_dword v12, v12, s[16:17] offset:1024
	v_lshlrev_b32_sdwa v15, v10, v13 dst_sel:DWORD dst_unused:UNUSED_PAD src0_sel:DWORD src1_sel:BYTE_1
	global_load_dword v14, v14, s[16:17]
	v_lshlrev_b32_sdwa v9, v10, v9 dst_sel:DWORD dst_unused:UNUSED_PAD src0_sel:DWORD src1_sel:BYTE_2
	global_load_dword v15, v15, s[16:17] offset:1024
	v_lshlrev_b32_sdwa v13, v10, v13 dst_sel:DWORD dst_unused:UNUSED_PAD src0_sel:DWORD src1_sel:BYTE_2
	v_add_u32_e32 v16, 0x48, v5
	global_load_dword v13, v13, s[16:17] offset:2048
	v_mul_lo_u32 v3, v3, v16
	global_load_dword v9, v9, s[16:17] offset:2048
	s_movk_i32 s2, 0x3aee
	s_mov_b32 s3, 0xbaee
	v_lshlrev_b32_sdwa v16, v10, v3 dst_sel:DWORD dst_unused:UNUSED_PAD src0_sel:DWORD src1_sel:BYTE_0
	v_lshlrev_b32_sdwa v17, v10, v3 dst_sel:DWORD dst_unused:UNUSED_PAD src0_sel:DWORD src1_sel:BYTE_1
	global_load_dword v18, v16, s[16:17]
	global_load_dword v19, v17, s[16:17] offset:1024
	v_lshlrev_b32_sdwa v3, v10, v3 dst_sel:DWORD dst_unused:UNUSED_PAD src0_sel:DWORD src1_sel:BYTE_2
	global_load_dword v10, v3, s[16:17] offset:2048
	v_add3_u32 v3, 0, v6, v4
	ds_read_b32 v6, v3 offset:4608
	ds_read2st64_b32 v[3:4], v3 offset1:9
	s_or_b64 vcc, vcc, s[0:1]
	v_readfirstlane_b32 s0, v2
	s_waitcnt lgkmcnt(1)
	v_lshrrev_b32_e32 v16, 16, v6
	s_waitcnt lgkmcnt(0)
	v_lshrrev_b32_e32 v17, 16, v3
	s_waitcnt vmcnt(9)
	v_lshrrev_b32_e32 v20, 16, v7
	v_mul_f16_sdwa v21, v7, v4 dst_sel:DWORD dst_unused:UNUSED_PAD src0_sel:DWORD src1_sel:WORD_1
	v_mul_f16_sdwa v22, v8, v16 dst_sel:DWORD dst_unused:UNUSED_PAD src0_sel:WORD_1 src1_sel:DWORD
	v_fma_f16 v22, v8, v6, -v22
	v_mul_f16_sdwa v6, v8, v6 dst_sel:DWORD dst_unused:UNUSED_PAD src0_sel:WORD_1 src1_sel:DWORD
	v_fma_f16 v21, v20, v4, v21
	v_mul_f16_sdwa v20, v20, v4 dst_sel:DWORD dst_unused:UNUSED_PAD src0_sel:DWORD src1_sel:WORD_1
	v_fma_f16 v6, v8, v16, v6
	s_waitcnt vmcnt(8)
	v_lshrrev_b32_e32 v8, 16, v11
	v_fma_f16 v4, v7, v4, -v20
	s_waitcnt vmcnt(7)
	v_mul_f16_sdwa v7, v11, v12 dst_sel:DWORD dst_unused:UNUSED_PAD src0_sel:DWORD src1_sel:WORD_1
	v_fma_f16 v7, v8, v12, v7
	v_mul_f16_sdwa v8, v8, v12 dst_sel:DWORD dst_unused:UNUSED_PAD src0_sel:DWORD src1_sel:WORD_1
	v_fma_f16 v8, v11, v12, -v8
	v_add_f16_e32 v11, v21, v17
	v_sub_f16_e32 v16, v21, v6
	v_add_f16_e32 v12, v21, v6
	v_add_f16_e32 v20, v4, v22
	s_waitcnt vmcnt(6)
	v_lshrrev_b32_e32 v21, 16, v14
	v_add_f16_e32 v6, v11, v6
	s_waitcnt vmcnt(5)
	v_mul_f16_sdwa v11, v14, v15 dst_sel:DWORD dst_unused:UNUSED_PAD src0_sel:DWORD src1_sel:WORD_1
	v_fma_f16 v20, v20, -0.5, v3
	v_add_f16_e32 v3, v4, v3
	v_fma_f16 v12, v12, -0.5, v17
	v_sub_f16_e32 v4, v4, v22
	s_waitcnt vmcnt(3)
	v_mul_f16_sdwa v17, v7, v9 dst_sel:DWORD dst_unused:UNUSED_PAD src0_sel:DWORD src1_sel:WORD_1
	v_fma_f16 v11, v21, v15, v11
	v_mul_f16_sdwa v21, v21, v15 dst_sel:DWORD dst_unused:UNUSED_PAD src0_sel:DWORD src1_sel:WORD_1
	v_add_f16_e32 v3, v3, v22
	v_fma_f16 v22, v4, s3, v12
	v_fma_f16 v4, v4, s2, v12
	v_fma_f16 v12, v9, v8, -v17
	v_mul_f16_sdwa v8, v8, v9 dst_sel:DWORD dst_unused:UNUSED_PAD src0_sel:DWORD src1_sel:WORD_1
	v_fma_f16 v14, v14, v15, -v21
	v_mul_f16_sdwa v15, v11, v13 dst_sel:DWORD dst_unused:UNUSED_PAD src0_sel:DWORD src1_sel:WORD_1
	v_fma_f16 v7, v9, v7, v8
	v_mul_f16_sdwa v9, v14, v13 dst_sel:DWORD dst_unused:UNUSED_PAD src0_sel:DWORD src1_sel:WORD_1
	v_fma_f16 v17, v16, s2, v20
	v_fma_f16 v8, v13, v14, -v15
	v_mul_f16_e32 v14, v6, v7
	v_mul_f16_e32 v7, v3, v7
	v_fma_f16 v9, v13, v11, v9
	v_fma_f16 v6, v6, v12, v7
	v_mul_f16_e32 v7, v22, v9
	v_mul_f16_e32 v9, v17, v9
	v_fma_f16 v3, v3, v12, -v14
	v_fma_f16 v7, v17, v8, -v7
	v_fma_f16 v8, v22, v8, v9
	s_waitcnt vmcnt(2)
	v_lshrrev_b32_e32 v9, 16, v18
	s_waitcnt vmcnt(1)
	v_mul_f16_sdwa v12, v18, v19 dst_sel:DWORD dst_unused:UNUSED_PAD src0_sel:DWORD src1_sel:WORD_1
	v_mul_f16_sdwa v11, v9, v19 dst_sel:DWORD dst_unused:UNUSED_PAD src0_sel:DWORD src1_sel:WORD_1
	v_fma_f16 v9, v9, v19, v12
	v_fma_f16 v11, v18, v19, -v11
	s_waitcnt vmcnt(0)
	v_mul_f16_sdwa v12, v9, v10 dst_sel:DWORD dst_unused:UNUSED_PAD src0_sel:DWORD src1_sel:WORD_1
	v_fma_f16 v12, v10, v11, -v12
	v_mul_f16_sdwa v11, v11, v10 dst_sel:DWORD dst_unused:UNUSED_PAD src0_sel:DWORD src1_sel:WORD_1
	s_movk_i32 s2, 0x23f
	v_fma_f16 v16, v16, s3, v20
	v_fma_f16 v9, v10, v9, v11
	v_mov_b32_e32 v11, 0x6c
	v_cmp_lt_u32_e64 s[2:3], s2, v0
	v_cndmask_b32_e64 v0, 0, v11, s[2:3]
	v_add_u32_e32 v0, v5, v0
	v_mul_lo_u32 v5, s12, v0
	v_add_u32_e32 v2, 36, v0
	v_mul_lo_u32 v2, s12, v2
	v_add_u32_e32 v0, 0x48, v0
	v_lshlrev_b32_e32 v6, 16, v6
	v_add_lshl_u32 v5, v1, v5, 2
	v_mul_lo_u32 v0, s12, v0
	v_or_b32_sdwa v3, v6, v3 dst_sel:DWORD dst_unused:UNUSED_PAD src0_sel:DWORD src1_sel:WORD_0
	v_cndmask_b32_e32 v5, -1, v5, vcc
	v_mul_f16_e32 v10, v4, v9
	v_mul_f16_e32 v9, v16, v9
	buffer_store_dword v3, v5, s[8:11], s0 offen
	v_lshlrev_b32_e32 v3, 16, v8
	v_add_lshl_u32 v2, v1, v2, 2
	v_fma_f16 v4, v4, v12, v9
	v_or_b32_sdwa v3, v3, v7 dst_sel:DWORD dst_unused:UNUSED_PAD src0_sel:DWORD src1_sel:WORD_0
	v_cndmask_b32_e32 v2, -1, v2, vcc
	v_fma_f16 v10, v16, v12, -v10
	buffer_store_dword v3, v2, s[8:11], s0 offen
	v_lshlrev_b32_e32 v2, 16, v4
	v_add_lshl_u32 v0, v1, v0, 2
	v_or_b32_sdwa v2, v2, v10 dst_sel:DWORD dst_unused:UNUSED_PAD src0_sel:DWORD src1_sel:WORD_0
	v_cndmask_b32_e32 v0, -1, v0, vcc
	buffer_store_dword v2, v0, s[8:11], s0 offen
	s_endpgm
	.section	.rodata,"a",@progbits
	.p2align	6, 0x0
	.amdhsa_kernel fft_rtc_fwd_len108_factors_6_6_3_wgs_576_tpt_36_half_ip_CI_sbcc_twdbase8_3step_dirReg_intrinsicReadWrite
		.amdhsa_group_segment_fixed_size 0
		.amdhsa_private_segment_fixed_size 0
		.amdhsa_kernarg_size 96
		.amdhsa_user_sgpr_count 6
		.amdhsa_user_sgpr_private_segment_buffer 1
		.amdhsa_user_sgpr_dispatch_ptr 0
		.amdhsa_user_sgpr_queue_ptr 0
		.amdhsa_user_sgpr_kernarg_segment_ptr 1
		.amdhsa_user_sgpr_dispatch_id 0
		.amdhsa_user_sgpr_flat_scratch_init 0
		.amdhsa_user_sgpr_private_segment_size 0
		.amdhsa_uses_dynamic_stack 0
		.amdhsa_system_sgpr_private_segment_wavefront_offset 0
		.amdhsa_system_sgpr_workgroup_id_x 1
		.amdhsa_system_sgpr_workgroup_id_y 0
		.amdhsa_system_sgpr_workgroup_id_z 0
		.amdhsa_system_sgpr_workgroup_info 0
		.amdhsa_system_vgpr_workitem_id 0
		.amdhsa_next_free_vgpr 27
		.amdhsa_next_free_sgpr 41
		.amdhsa_reserve_vcc 1
		.amdhsa_reserve_flat_scratch 0
		.amdhsa_float_round_mode_32 0
		.amdhsa_float_round_mode_16_64 0
		.amdhsa_float_denorm_mode_32 3
		.amdhsa_float_denorm_mode_16_64 3
		.amdhsa_dx10_clamp 1
		.amdhsa_ieee_mode 1
		.amdhsa_fp16_overflow 0
		.amdhsa_exception_fp_ieee_invalid_op 0
		.amdhsa_exception_fp_denorm_src 0
		.amdhsa_exception_fp_ieee_div_zero 0
		.amdhsa_exception_fp_ieee_overflow 0
		.amdhsa_exception_fp_ieee_underflow 0
		.amdhsa_exception_fp_ieee_inexact 0
		.amdhsa_exception_int_div_zero 0
	.end_amdhsa_kernel
	.text
.Lfunc_end0:
	.size	fft_rtc_fwd_len108_factors_6_6_3_wgs_576_tpt_36_half_ip_CI_sbcc_twdbase8_3step_dirReg_intrinsicReadWrite, .Lfunc_end0-fft_rtc_fwd_len108_factors_6_6_3_wgs_576_tpt_36_half_ip_CI_sbcc_twdbase8_3step_dirReg_intrinsicReadWrite
                                        ; -- End function
	.section	.AMDGPU.csdata,"",@progbits
; Kernel info:
; codeLenInByte = 3620
; NumSgprs: 45
; NumVgprs: 27
; ScratchSize: 0
; MemoryBound: 0
; FloatMode: 240
; IeeeMode: 1
; LDSByteSize: 0 bytes/workgroup (compile time only)
; SGPRBlocks: 5
; VGPRBlocks: 6
; NumSGPRsForWavesPerEU: 45
; NumVGPRsForWavesPerEU: 27
; Occupancy: 9
; WaveLimiterHint : 0
; COMPUTE_PGM_RSRC2:SCRATCH_EN: 0
; COMPUTE_PGM_RSRC2:USER_SGPR: 6
; COMPUTE_PGM_RSRC2:TRAP_HANDLER: 0
; COMPUTE_PGM_RSRC2:TGID_X_EN: 1
; COMPUTE_PGM_RSRC2:TGID_Y_EN: 0
; COMPUTE_PGM_RSRC2:TGID_Z_EN: 0
; COMPUTE_PGM_RSRC2:TIDIG_COMP_CNT: 0
	.type	__hip_cuid_2a309ec4cf7a2ef,@object ; @__hip_cuid_2a309ec4cf7a2ef
	.section	.bss,"aw",@nobits
	.globl	__hip_cuid_2a309ec4cf7a2ef
__hip_cuid_2a309ec4cf7a2ef:
	.byte	0                               ; 0x0
	.size	__hip_cuid_2a309ec4cf7a2ef, 1

	.ident	"AMD clang version 19.0.0git (https://github.com/RadeonOpenCompute/llvm-project roc-6.4.0 25133 c7fe45cf4b819c5991fe208aaa96edf142730f1d)"
	.section	".note.GNU-stack","",@progbits
	.addrsig
	.addrsig_sym __hip_cuid_2a309ec4cf7a2ef
	.amdgpu_metadata
---
amdhsa.kernels:
  - .args:
      - .actual_access:  read_only
        .address_space:  global
        .offset:         0
        .size:           8
        .value_kind:     global_buffer
      - .address_space:  global
        .offset:         8
        .size:           8
        .value_kind:     global_buffer
      - .offset:         16
        .size:           8
        .value_kind:     by_value
      - .actual_access:  read_only
        .address_space:  global
        .offset:         24
        .size:           8
        .value_kind:     global_buffer
      - .actual_access:  read_only
        .address_space:  global
        .offset:         32
        .size:           8
        .value_kind:     global_buffer
      - .offset:         40
        .size:           8
        .value_kind:     by_value
      - .actual_access:  read_only
        .address_space:  global
        .offset:         48
        .size:           8
        .value_kind:     global_buffer
      - .actual_access:  read_only
        .address_space:  global
        .offset:         56
        .size:           8
        .value_kind:     global_buffer
      - .offset:         64
        .size:           4
        .value_kind:     by_value
      - .actual_access:  read_only
        .address_space:  global
        .offset:         72
        .size:           8
        .value_kind:     global_buffer
      - .actual_access:  read_only
        .address_space:  global
        .offset:         80
        .size:           8
        .value_kind:     global_buffer
      - .address_space:  global
        .offset:         88
        .size:           8
        .value_kind:     global_buffer
    .group_segment_fixed_size: 0
    .kernarg_segment_align: 8
    .kernarg_segment_size: 96
    .language:       OpenCL C
    .language_version:
      - 2
      - 0
    .max_flat_workgroup_size: 576
    .name:           fft_rtc_fwd_len108_factors_6_6_3_wgs_576_tpt_36_half_ip_CI_sbcc_twdbase8_3step_dirReg_intrinsicReadWrite
    .private_segment_fixed_size: 0
    .sgpr_count:     45
    .sgpr_spill_count: 0
    .symbol:         fft_rtc_fwd_len108_factors_6_6_3_wgs_576_tpt_36_half_ip_CI_sbcc_twdbase8_3step_dirReg_intrinsicReadWrite.kd
    .uniform_work_group_size: 1
    .uses_dynamic_stack: false
    .vgpr_count:     27
    .vgpr_spill_count: 0
    .wavefront_size: 64
amdhsa.target:   amdgcn-amd-amdhsa--gfx906
amdhsa.version:
  - 1
  - 2
...

	.end_amdgpu_metadata
